;; amdgpu-corpus repo=ROCm/rocFFT kind=compiled arch=gfx1201 opt=O3
	.text
	.amdgcn_target "amdgcn-amd-amdhsa--gfx1201"
	.amdhsa_code_object_version 6
	.protected	fft_rtc_fwd_len104_factors_4_13_2_wgs_208_tpt_26_dim2_dp_ip_CI_sbcc_twdbase8_3step_dirReg_intrinsicReadWrite ; -- Begin function fft_rtc_fwd_len104_factors_4_13_2_wgs_208_tpt_26_dim2_dp_ip_CI_sbcc_twdbase8_3step_dirReg_intrinsicReadWrite
	.globl	fft_rtc_fwd_len104_factors_4_13_2_wgs_208_tpt_26_dim2_dp_ip_CI_sbcc_twdbase8_3step_dirReg_intrinsicReadWrite
	.p2align	8
	.type	fft_rtc_fwd_len104_factors_4_13_2_wgs_208_tpt_26_dim2_dp_ip_CI_sbcc_twdbase8_3step_dirReg_intrinsicReadWrite,@function
fft_rtc_fwd_len104_factors_4_13_2_wgs_208_tpt_26_dim2_dp_ip_CI_sbcc_twdbase8_3step_dirReg_intrinsicReadWrite: ; @fft_rtc_fwd_len104_factors_4_13_2_wgs_208_tpt_26_dim2_dp_ip_CI_sbcc_twdbase8_3step_dirReg_intrinsicReadWrite
; %bb.0:
	s_load_b128 s[4:7], s[0:1], 0x10
	s_mov_b32 s10, ttmp9
	s_mov_b32 s11, 0
	s_mov_b64 s[14:15], 0
	s_wait_kmcnt 0x0
	s_load_b64 s[8:9], s[4:5], 0x8
	s_load_b64 s[2:3], s[0:1], 0x50
	;; [unrolled: 1-line block ×3, first 2 shown]
	s_wait_kmcnt 0x0
	s_add_nc_u64 s[12:13], s[8:9], -1
	s_delay_alu instid0(SALU_CYCLE_1) | instskip(NEXT) | instid1(SALU_CYCLE_1)
	s_lshr_b64 s[12:13], s[12:13], 3
	s_add_nc_u64 s[12:13], s[12:13], 1
	s_delay_alu instid0(SALU_CYCLE_1) | instskip(NEXT) | instid1(VALU_DEP_1)
	v_cmp_lt_u64_e64 s5, s[10:11], s[12:13]
	s_and_b32 vcc_lo, exec_lo, s5
	s_cbranch_vccnz .LBB0_2
; %bb.1:
	v_cvt_f32_u32_e32 v1, s12
	s_sub_co_i32 s14, 0, s12
	s_delay_alu instid0(VALU_DEP_1) | instskip(NEXT) | instid1(TRANS32_DEP_1)
	v_rcp_iflag_f32_e32 v1, v1
	v_mul_f32_e32 v1, 0x4f7ffffe, v1
	s_delay_alu instid0(VALU_DEP_1) | instskip(NEXT) | instid1(VALU_DEP_1)
	v_cvt_u32_f32_e32 v1, v1
	v_readfirstlane_b32 s5, v1
	s_delay_alu instid0(VALU_DEP_1) | instskip(NEXT) | instid1(SALU_CYCLE_1)
	s_mul_i32 s14, s14, s5
	s_mul_hi_u32 s14, s5, s14
	s_delay_alu instid0(SALU_CYCLE_1) | instskip(NEXT) | instid1(SALU_CYCLE_1)
	s_add_co_i32 s5, s5, s14
	s_mul_hi_u32 s5, s10, s5
	s_delay_alu instid0(SALU_CYCLE_1) | instskip(SKIP_2) | instid1(SALU_CYCLE_1)
	s_mul_i32 s14, s5, s12
	s_add_co_i32 s15, s5, 1
	s_sub_co_i32 s14, s10, s14
	s_sub_co_i32 s16, s14, s12
	s_cmp_ge_u32 s14, s12
	s_cselect_b32 s5, s15, s5
	s_cselect_b32 s14, s16, s14
	s_add_co_i32 s15, s5, 1
	s_cmp_ge_u32 s14, s12
	s_cselect_b32 s14, s15, s5
	s_mov_b32 s15, s11
.LBB0_2:
	s_load_b128 s[16:19], s[6:7], 0x8
	v_and_b32_e32 v17, 7, v0
	s_mul_u64 s[6:7], s[14:15], s[12:13]
	v_lshrrev_b32_e32 v80, 3, v0
	s_sub_nc_u64 s[6:7], s[10:11], s[6:7]
	s_delay_alu instid0(SALU_CYCLE_1) | instskip(NEXT) | instid1(SALU_CYCLE_1)
	s_lshl_b64 s[6:7], s[6:7], 3
	v_dual_mov_b32 v3, 0 :: v_dual_mov_b32 v64, s7
	v_mov_b32_e32 v4, 0
	v_or_b32_e32 v63, s6, v17
	s_add_nc_u64 s[10:11], s[6:7], 8
	s_wait_alu 0xfffe
	v_cmp_le_u64_e64 s5, s[10:11], s[8:9]
	v_mov_b32_e32 v8, v4
	v_cmp_gt_u64_e32 vcc_lo, s[8:9], v[63:64]
	v_dual_mov_b32 v7, v3 :: v_dual_mov_b32 v6, v4
	v_mov_b32_e32 v5, v3
	s_wait_kmcnt 0x0
	v_mad_co_u64_u32 v[61:62], null, s16, v17, 0
	s_mul_u64 s[6:7], s[6:7], s[16:17]
	s_mul_u64 s[10:11], s[18:19], s[14:15]
	s_or_b32 s5, s5, vcc_lo
	s_wait_alu 0xfffe
	s_add_nc_u64 s[6:7], s[10:11], s[6:7]
	s_delay_alu instid0(VALU_DEP_1) | instskip(NEXT) | instid1(VALU_DEP_1)
	v_mov_b32_e32 v1, v62
	v_mad_co_u64_u32 v[1:2], null, s17, v17, v[1:2]
	s_and_saveexec_b32 s7, s5
	s_cbranch_execz .LBB0_4
; %bb.3:
	v_mul_lo_u32 v1, s4, v80
	v_mov_b32_e32 v2, 0
	s_wait_alu 0xfffe
	s_delay_alu instid0(VALU_DEP_2) | instskip(NEXT) | instid1(VALU_DEP_1)
	v_add3_u32 v1, s6, v61, v1
	v_lshlrev_b64_e32 v[1:2], 4, v[1:2]
	s_delay_alu instid0(VALU_DEP_1) | instskip(NEXT) | instid1(VALU_DEP_2)
	v_add_co_u32 v1, vcc_lo, s2, v1
	v_add_co_ci_u32_e32 v2, vcc_lo, s3, v2, vcc_lo
	global_load_b128 v[5:8], v[1:2], off
.LBB0_4:
	s_wait_alu 0xfffe
	s_or_b32 exec_lo, exec_lo, s7
	v_dual_mov_b32 v1, v3 :: v_dual_add_nc_u32 v62, 26, v80
	v_mov_b32_e32 v2, v4
	s_and_saveexec_b32 s7, s5
	s_cbranch_execz .LBB0_6
; %bb.5:
	s_delay_alu instid0(VALU_DEP_2) | instskip(SKIP_1) | instid1(VALU_DEP_2)
	v_mul_lo_u32 v1, s4, v62
	v_mov_b32_e32 v2, 0
	v_add3_u32 v1, s6, v61, v1
	s_delay_alu instid0(VALU_DEP_1) | instskip(NEXT) | instid1(VALU_DEP_1)
	v_lshlrev_b64_e32 v[1:2], 4, v[1:2]
	v_add_co_u32 v1, vcc_lo, s2, v1
	s_wait_alu 0xfffd
	s_delay_alu instid0(VALU_DEP_2)
	v_add_co_ci_u32_e32 v2, vcc_lo, s3, v2, vcc_lo
	global_load_b128 v[1:4], v[1:2], off
.LBB0_6:
	s_wait_alu 0xfffe
	s_or_b32 exec_lo, exec_lo, s7
	v_mov_b32_e32 v11, 0
	v_mov_b32_e32 v12, 0
	s_delay_alu instid0(VALU_DEP_1)
	v_dual_mov_b32 v16, v12 :: v_dual_mov_b32 v15, v11
	v_dual_mov_b32 v14, v12 :: v_dual_mov_b32 v13, v11
	s_and_saveexec_b32 s7, s5
	s_cbranch_execz .LBB0_8
; %bb.7:
	v_dual_mov_b32 v10, 0 :: v_dual_add_nc_u32 v9, 52, v80
	s_delay_alu instid0(VALU_DEP_1) | instskip(NEXT) | instid1(VALU_DEP_1)
	v_mul_lo_u32 v9, s4, v9
	v_add3_u32 v9, s6, v61, v9
	s_delay_alu instid0(VALU_DEP_1) | instskip(NEXT) | instid1(VALU_DEP_1)
	v_lshlrev_b64_e32 v[9:10], 4, v[9:10]
	v_add_co_u32 v9, vcc_lo, s2, v9
	s_wait_alu 0xfffd
	s_delay_alu instid0(VALU_DEP_2)
	v_add_co_ci_u32_e32 v10, vcc_lo, s3, v10, vcc_lo
	global_load_b128 v[13:16], v[9:10], off
.LBB0_8:
	s_wait_alu 0xfffe
	s_or_b32 exec_lo, exec_lo, s7
	v_dual_mov_b32 v9, v11 :: v_dual_mov_b32 v10, v12
	s_and_saveexec_b32 s7, s5
	s_cbranch_execz .LBB0_10
; %bb.9:
	v_dual_mov_b32 v10, 0 :: v_dual_add_nc_u32 v9, 0x4e, v80
	s_delay_alu instid0(VALU_DEP_1) | instskip(NEXT) | instid1(VALU_DEP_1)
	v_mul_lo_u32 v9, s4, v9
	v_add3_u32 v9, s6, v61, v9
	s_delay_alu instid0(VALU_DEP_1) | instskip(NEXT) | instid1(VALU_DEP_1)
	v_lshlrev_b64_e32 v[9:10], 4, v[9:10]
	v_add_co_u32 v9, vcc_lo, s2, v9
	s_wait_alu 0xfffd
	s_delay_alu instid0(VALU_DEP_2)
	v_add_co_ci_u32_e32 v10, vcc_lo, s3, v10, vcc_lo
	global_load_b128 v[9:12], v[9:10], off
.LBB0_10:
	s_wait_alu 0xfffe
	s_or_b32 exec_lo, exec_lo, s7
	s_wait_loadcnt 0x0
	v_add_f64_e64 v[13:14], v[5:6], -v[13:14]
	v_add_f64_e64 v[15:16], v[7:8], -v[15:16]
	;; [unrolled: 1-line block ×4, first 2 shown]
	s_load_b64 s[8:9], s[0:1], 0x0
	v_lshlrev_b32_e32 v81, 4, v17
	v_cmp_gt_u32_e32 vcc_lo, 64, v0
                                        ; implicit-def: $vgpr51_vgpr52
                                        ; implicit-def: $vgpr47_vgpr48
                                        ; implicit-def: $vgpr43_vgpr44
                                        ; implicit-def: $vgpr39_vgpr40
                                        ; implicit-def: $vgpr35_vgpr36
                                        ; implicit-def: $vgpr31_vgpr32
	v_fma_f64 v[18:19], v[5:6], 2.0, -v[13:14]
	v_fma_f64 v[27:28], v[7:8], 2.0, -v[15:16]
	;; [unrolled: 1-line block ×4, first 2 shown]
	v_add_f64_e64 v[21:22], v[13:14], -v[11:12]
	v_add_f64_e32 v[23:24], v[15:16], v[9:10]
	v_lshlrev_b32_e32 v9, 9, v80
                                        ; implicit-def: $vgpr11_vgpr12
	s_delay_alu instid0(VALU_DEP_1) | instskip(SKIP_3) | instid1(VALU_DEP_3)
	v_add3_u32 v9, 0, v9, v81
	v_add_f64_e64 v[5:6], v[18:19], -v[1:2]
	v_add_f64_e64 v[7:8], v[27:28], -v[3:4]
	v_fma_f64 v[25:26], v[13:14], 2.0, -v[21:22]
	v_fma_f64 v[1:2], v[18:19], 2.0, -v[5:6]
	s_delay_alu instid0(VALU_DEP_3)
	v_fma_f64 v[3:4], v[27:28], 2.0, -v[7:8]
	v_fma_f64 v[27:28], v[15:16], 2.0, -v[23:24]
                                        ; implicit-def: $vgpr19_vgpr20
                                        ; implicit-def: $vgpr15_vgpr16
	ds_store_b128 v9, v[5:8] offset:256
	ds_store_b128 v9, v[21:24] offset:384
	ds_store_b128 v9, v[1:4]
	ds_store_b128 v9, v[25:28] offset:128
	global_wb scope:SCOPE_SE
	s_wait_dscnt 0x0
	s_wait_kmcnt 0x0
	s_barrier_signal -1
	s_barrier_wait -1
	global_inv scope:SCOPE_SE
	s_and_saveexec_b32 s7, vcc_lo
	s_cbranch_execz .LBB0_12
; %bb.11:
	v_and_b32_e32 v1, 56, v0
	s_delay_alu instid0(VALU_DEP_1) | instskip(NEXT) | instid1(VALU_DEP_1)
	v_lshlrev_b32_e32 v1, 4, v1
	v_add3_u32 v49, 0, v1, v81
	ds_load_b128 v[1:4], v49
	ds_load_b128 v[25:28], v49 offset:1024
	ds_load_b128 v[5:8], v49 offset:2048
	;; [unrolled: 1-line block ×12, first 2 shown]
.LBB0_12:
	s_wait_alu 0xfffe
	s_or_b32 exec_lo, exec_lo, s7
	global_wb scope:SCOPE_SE
	s_wait_dscnt 0x0
	s_barrier_signal -1
	s_barrier_wait -1
	global_inv scope:SCOPE_SE
	s_and_saveexec_b32 s7, vcc_lo
	s_cbranch_execz .LBB0_14
; %bb.13:
	v_bfe_u32 v82, v0, 3, 2
	s_mov_b32 s16, 0xebaa3ed8
	s_mov_b32 s14, 0xb2365da1
	;; [unrolled: 1-line block ×4, first 2 shown]
	v_mul_u32_u24_e32 v53, 12, v82
	s_mov_b32 s10, 0x93053d00
	s_mov_b32 s42, 0xe00740e9
	;; [unrolled: 1-line block ×4, first 2 shown]
	v_lshlrev_b32_e32 v66, 4, v53
	s_mov_b32 s25, 0x3fe22d96
	s_mov_b32 s13, 0xbfe7f3cc
	;; [unrolled: 1-line block ×4, first 2 shown]
	s_clause 0x1
	global_load_b128 v[57:60], v66, s[8:9]
	global_load_b128 v[53:56], v66, s[8:9] offset:16
	s_mov_b32 s44, 0x4267c47c
	s_mov_b32 s45, 0xbfddbe06
	;; [unrolled: 1-line block ×24, first 2 shown]
	s_wait_loadcnt 0x1
	v_mul_f64_e32 v[64:65], v[25:26], v[59:60]
	s_delay_alu instid0(VALU_DEP_1) | instskip(SKIP_1) | instid1(VALU_DEP_1)
	v_fma_f64 v[64:65], v[27:28], v[57:58], v[64:65]
	v_mul_f64_e32 v[27:28], v[27:28], v[59:60]
	v_fma_f64 v[83:84], v[25:26], v[57:58], -v[27:28]
	s_clause 0x1
	global_load_b128 v[57:60], v66, s[8:9] offset:176
	global_load_b128 v[67:70], v66, s[8:9] offset:160
	s_wait_loadcnt 0x1
	v_mul_f64_e32 v[25:26], v[49:50], v[59:60]
	v_mul_f64_e32 v[27:28], v[51:52], v[59:60]
	s_delay_alu instid0(VALU_DEP_2) | instskip(NEXT) | instid1(VALU_DEP_2)
	v_fma_f64 v[25:26], v[51:52], v[57:58], v[25:26]
	v_fma_f64 v[27:28], v[49:50], v[57:58], -v[27:28]
	s_clause 0x1
	global_load_b128 v[57:60], v66, s[8:9] offset:64
	global_load_b128 v[71:74], v66, s[8:9] offset:80
	v_add_f64_e32 v[95:96], v[83:84], v[27:28]
	s_wait_loadcnt 0x1
	v_mul_f64_e32 v[49:50], v[33:34], v[59:60]
	s_delay_alu instid0(VALU_DEP_1) | instskip(SKIP_1) | instid1(VALU_DEP_1)
	v_fma_f64 v[49:50], v[35:36], v[57:58], v[49:50]
	v_mul_f64_e32 v[35:36], v[35:36], v[59:60]
	v_fma_f64 v[33:34], v[33:34], v[57:58], -v[35:36]
	global_load_b128 v[57:60], v66, s[8:9] offset:32
	s_wait_loadcnt 0x0
	v_mul_f64_e32 v[35:36], v[21:22], v[59:60]
	s_delay_alu instid0(VALU_DEP_1) | instskip(SKIP_1) | instid1(VALU_DEP_1)
	v_fma_f64 v[35:36], v[23:24], v[57:58], v[35:36]
	v_mul_f64_e32 v[23:24], v[23:24], v[59:60]
	v_fma_f64 v[51:52], v[21:22], v[57:58], -v[23:24]
	s_clause 0x1
	global_load_b128 v[57:60], v66, s[8:9] offset:144
	global_load_b128 v[75:78], v66, s[8:9] offset:128
	s_wait_loadcnt 0x1
	v_mul_f64_e32 v[21:22], v[45:46], v[59:60]
	v_mul_f64_e32 v[23:24], v[47:48], v[59:60]
	s_delay_alu instid0(VALU_DEP_2) | instskip(NEXT) | instid1(VALU_DEP_2)
	v_fma_f64 v[21:22], v[47:48], v[57:58], v[21:22]
	v_fma_f64 v[23:24], v[45:46], v[57:58], -v[23:24]
	global_load_b128 v[57:60], v66, s[8:9] offset:48
	v_add_f64_e32 v[123:124], v[35:36], v[21:22]
	v_add_f64_e64 v[125:126], v[35:36], -v[21:22]
	v_add_f64_e32 v[127:128], v[51:52], v[23:24]
	s_wait_alu 0xfffe
	s_delay_alu instid0(VALU_DEP_3) | instskip(NEXT) | instid1(VALU_DEP_3)
	v_mul_f64_e32 v[169:170], s[10:11], v[123:124]
	v_mul_f64_e32 v[171:172], s[30:31], v[125:126]
	s_wait_loadcnt 0x0
	v_mul_f64_e32 v[45:46], v[29:30], v[59:60]
	s_delay_alu instid0(VALU_DEP_1) | instskip(SKIP_1) | instid1(VALU_DEP_1)
	v_fma_f64 v[45:46], v[31:32], v[57:58], v[45:46]
	v_mul_f64_e32 v[31:32], v[31:32], v[59:60]
	v_fma_f64 v[47:48], v[29:30], v[57:58], -v[31:32]
	v_mul_f64_e32 v[29:30], v[41:42], v[77:78]
	v_mul_f64_e32 v[31:32], v[43:44], v[77:78]
	s_delay_alu instid0(VALU_DEP_2) | instskip(NEXT) | instid1(VALU_DEP_2)
	v_fma_f64 v[29:30], v[43:44], v[75:76], v[29:30]
	v_fma_f64 v[31:32], v[41:42], v[75:76], -v[31:32]
	s_clause 0x1
	global_load_b128 v[57:60], v66, s[8:9] offset:112
	global_load_b128 v[75:78], v66, s[8:9] offset:96
	v_add_f64_e32 v[129:130], v[45:46], v[29:30]
	v_add_f64_e64 v[131:132], v[47:48], -v[31:32]
	v_add_f64_e32 v[135:136], v[47:48], v[31:32]
	s_delay_alu instid0(VALU_DEP_3) | instskip(SKIP_2) | instid1(VALU_DEP_1)
	v_mul_f64_e32 v[173:174], s[12:13], v[129:130]
	s_wait_loadcnt 0x1
	v_mul_f64_e32 v[41:42], v[37:38], v[59:60]
	v_fma_f64 v[41:42], v[39:40], v[57:58], v[41:42]
	v_mul_f64_e32 v[39:40], v[39:40], v[59:60]
	s_delay_alu instid0(VALU_DEP_1) | instskip(SKIP_1) | instid1(VALU_DEP_2)
	v_fma_f64 v[37:38], v[37:38], v[57:58], -v[39:40]
	v_mul_f64_e32 v[39:40], v[9:10], v[73:74]
	v_add_f64_e64 v[141:142], v[33:34], -v[37:38]
	s_delay_alu instid0(VALU_DEP_2) | instskip(SKIP_2) | instid1(VALU_DEP_2)
	v_fma_f64 v[39:40], v[11:12], v[71:72], v[39:40]
	v_mul_f64_e32 v[11:12], v[11:12], v[73:74]
	v_add_f64_e32 v[147:148], v[33:34], v[37:38]
	v_fma_f64 v[9:10], v[9:10], v[71:72], -v[11:12]
	s_wait_loadcnt 0x0
	v_mul_f64_e32 v[11:12], v[13:14], v[77:78]
	s_delay_alu instid0(VALU_DEP_1) | instskip(SKIP_1) | instid1(VALU_DEP_1)
	v_fma_f64 v[11:12], v[15:16], v[75:76], v[11:12]
	v_mul_f64_e32 v[15:16], v[15:16], v[77:78]
	v_fma_f64 v[13:14], v[13:14], v[75:76], -v[15:16]
	v_mul_f64_e32 v[15:16], v[5:6], v[55:56]
	s_delay_alu instid0(VALU_DEP_2) | instskip(NEXT) | instid1(VALU_DEP_2)
	v_add_f64_e64 v[153:154], v[9:10], -v[13:14]
	v_fma_f64 v[15:16], v[7:8], v[53:54], v[15:16]
	v_mul_f64_e32 v[7:8], v[7:8], v[55:56]
	v_add_f64_e32 v[159:160], v[9:10], v[13:14]
	s_delay_alu instid0(VALU_DEP_2) | instskip(SKIP_2) | instid1(VALU_DEP_2)
	v_fma_f64 v[43:44], v[5:6], v[53:54], -v[7:8]
	v_mul_f64_e32 v[7:8], v[19:20], v[69:70]
	v_mul_f64_e32 v[5:6], v[17:18], v[69:70]
	v_fma_f64 v[7:8], v[17:18], v[67:68], -v[7:8]
	v_add_f64_e32 v[17:18], v[64:65], v[25:26]
	s_delay_alu instid0(VALU_DEP_3) | instskip(SKIP_1) | instid1(VALU_DEP_3)
	v_fma_f64 v[5:6], v[19:20], v[67:68], v[5:6]
	v_add_f64_e64 v[66:67], v[83:84], -v[27:28]
	v_mul_f64_e32 v[19:20], s[10:11], v[17:18]
	v_mul_f64_e32 v[53:54], s[12:13], v[17:18]
	;; [unrolled: 1-line block ×6, first 2 shown]
	v_fma_f64 v[68:69], v[66:67], s[20:21], v[19:20]
	v_fma_f64 v[70:71], v[66:67], s[30:31], v[19:20]
	;; [unrolled: 1-line block ×7, first 2 shown]
	v_add_f64_e64 v[17:18], v[64:65], -v[25:26]
	v_fma_f64 v[55:56], v[66:67], s[38:39], v[55:56]
	v_fma_f64 v[85:86], v[66:67], s[26:27], v[57:58]
	;; [unrolled: 1-line block ×5, first 2 shown]
	v_add_f64_e32 v[68:69], v[3:4], v[68:69]
	v_add_f64_e32 v[113:114], v[3:4], v[72:73]
	;; [unrolled: 1-line block ×5, first 2 shown]
	v_mul_f64_e32 v[78:79], s[34:35], v[17:18]
	v_mul_f64_e32 v[19:20], s[30:31], v[17:18]
	;; [unrolled: 1-line block ×6, first 2 shown]
	v_add_f64_e32 v[74:75], v[3:4], v[85:86]
	v_add_f64_e32 v[121:122], v[3:4], v[57:58]
	;; [unrolled: 1-line block ×3, first 2 shown]
	v_mul_f64_e32 v[91:92], s[12:13], v[123:124]
	v_fma_f64 v[105:106], v[95:96], s[16:17], v[78:79]
	v_fma_f64 v[97:98], v[95:96], s[10:11], v[19:20]
	v_fma_f64 v[99:100], v[95:96], s[10:11], -v[19:20]
	v_fma_f64 v[101:102], v[95:96], s[12:13], v[66:67]
	v_fma_f64 v[66:67], v[95:96], s[12:13], -v[66:67]
	;; [unrolled: 2-line block ×3, first 2 shown]
	v_fma_f64 v[107:108], v[95:96], s[16:17], -v[78:79]
	v_fma_f64 v[109:110], v[95:96], s[24:25], v[93:94]
	v_fma_f64 v[93:94], v[95:96], s[24:25], -v[93:94]
	v_fma_f64 v[111:112], v[95:96], s[42:43], v[17:18]
	v_fma_f64 v[95:96], v[95:96], s[42:43], -v[17:18]
	v_add_f64_e32 v[17:18], v[3:4], v[64:65]
	v_add_f64_e32 v[19:20], v[1:2], v[83:84]
	;; [unrolled: 1-line block ×19, first 2 shown]
	v_add_f64_e64 v[1:2], v[43:44], -v[7:8]
	v_add_f64_e64 v[111:112], v[15:16], -v[5:6]
	v_mul_f64_e32 v[87:88], s[42:43], v[59:60]
	v_mul_f64_e32 v[165:166], s[14:15], v[59:60]
	v_mul_f64_e32 v[185:186], s[10:11], v[59:60]
	s_delay_alu instid0(VALU_DEP_4) | instskip(SKIP_3) | instid1(VALU_DEP_2)
	v_mul_f64_e32 v[89:90], s[46:47], v[111:112]
	v_mul_f64_e32 v[167:168], s[38:39], v[111:112]
	v_fma_f64 v[70:71], v[1:2], s[44:45], v[87:88]
	v_fma_f64 v[87:88], v[1:2], s[46:47], v[87:88]
	v_add_f64_e32 v[85:86], v[70:71], v[68:69]
	v_add_f64_e32 v[68:69], v[43:44], v[7:8]
	s_delay_alu instid0(VALU_DEP_3) | instskip(SKIP_1) | instid1(VALU_DEP_3)
	v_add_f64_e32 v[87:88], v[87:88], v[97:98]
	v_mul_f64_e32 v[97:98], s[26:27], v[111:112]
	v_fma_f64 v[70:71], v[68:69], s[42:43], v[89:90]
	v_fma_f64 v[89:90], v[68:69], s[42:43], -v[89:90]
	s_delay_alu instid0(VALU_DEP_2) | instskip(SKIP_1) | instid1(VALU_DEP_3)
	v_add_f64_e32 v[83:84], v[70:71], v[83:84]
	v_add_f64_e64 v[70:71], v[51:52], -v[23:24]
	v_add_f64_e32 v[89:90], v[89:90], v[99:100]
	v_mul_f64_e32 v[99:100], s[24:25], v[123:124]
	s_delay_alu instid0(VALU_DEP_3) | instskip(SKIP_1) | instid1(VALU_DEP_2)
	v_fma_f64 v[93:94], v[70:71], s[22:23], v[91:92]
	v_fma_f64 v[91:92], v[70:71], s[36:37], v[91:92]
	v_add_f64_e32 v[85:86], v[93:94], v[85:86]
	v_mul_f64_e32 v[93:94], s[36:37], v[125:126]
	s_delay_alu instid0(VALU_DEP_3) | instskip(NEXT) | instid1(VALU_DEP_2)
	v_add_f64_e32 v[87:88], v[91:92], v[87:88]
	v_fma_f64 v[95:96], v[127:128], s[12:13], v[93:94]
	v_fma_f64 v[91:92], v[127:128], s[12:13], -v[93:94]
	s_delay_alu instid0(VALU_DEP_2) | instskip(SKIP_1) | instid1(VALU_DEP_3)
	v_add_f64_e32 v[83:84], v[95:96], v[83:84]
	v_mul_f64_e32 v[95:96], s[24:25], v[129:130]
	v_add_f64_e32 v[89:90], v[91:92], v[89:90]
	s_delay_alu instid0(VALU_DEP_2) | instskip(SKIP_2) | instid1(VALU_DEP_3)
	v_fma_f64 v[133:134], v[131:132], s[40:41], v[95:96]
	v_fma_f64 v[91:92], v[131:132], s[28:29], v[95:96]
	v_mul_f64_e32 v[95:96], s[16:17], v[59:60]
	v_add_f64_e32 v[85:86], v[133:134], v[85:86]
	v_add_f64_e64 v[133:134], v[45:46], -v[29:30]
	s_delay_alu instid0(VALU_DEP_4) | instskip(NEXT) | instid1(VALU_DEP_2)
	v_add_f64_e32 v[87:88], v[91:92], v[87:88]
	v_mul_f64_e32 v[137:138], s[28:29], v[133:134]
	v_mul_f64_e32 v[175:176], s[22:23], v[133:134]
	s_delay_alu instid0(VALU_DEP_2) | instskip(SKIP_1) | instid1(VALU_DEP_2)
	v_fma_f64 v[139:140], v[135:136], s[24:25], v[137:138]
	v_fma_f64 v[91:92], v[135:136], s[24:25], -v[137:138]
	v_add_f64_e32 v[83:84], v[139:140], v[83:84]
	v_add_f64_e32 v[139:140], v[49:50], v[41:42]
	s_delay_alu instid0(VALU_DEP_3) | instskip(NEXT) | instid1(VALU_DEP_2)
	v_add_f64_e32 v[89:90], v[91:92], v[89:90]
	v_mul_f64_e32 v[143:144], s[14:15], v[139:140]
	v_mul_f64_e32 v[177:178], s[16:17], v[139:140]
	s_delay_alu instid0(VALU_DEP_2) | instskip(SKIP_1) | instid1(VALU_DEP_2)
	v_fma_f64 v[145:146], v[141:142], s[18:19], v[143:144]
	v_fma_f64 v[91:92], v[141:142], s[38:39], v[143:144]
	v_add_f64_e32 v[85:86], v[145:146], v[85:86]
	v_add_f64_e64 v[145:146], v[49:50], -v[41:42]
	s_delay_alu instid0(VALU_DEP_3) | instskip(NEXT) | instid1(VALU_DEP_2)
	v_add_f64_e32 v[87:88], v[91:92], v[87:88]
	v_mul_f64_e32 v[149:150], s[38:39], v[145:146]
	v_mul_f64_e32 v[179:180], s[26:27], v[145:146]
	s_delay_alu instid0(VALU_DEP_2) | instskip(SKIP_1) | instid1(VALU_DEP_2)
	v_fma_f64 v[151:152], v[147:148], s[14:15], v[149:150]
	v_fma_f64 v[91:92], v[147:148], s[14:15], -v[149:150]
	v_add_f64_e32 v[83:84], v[151:152], v[83:84]
	v_add_f64_e32 v[151:152], v[39:40], v[11:12]
	s_delay_alu instid0(VALU_DEP_3) | instskip(NEXT) | instid1(VALU_DEP_2)
	v_add_f64_e32 v[91:92], v[91:92], v[89:90]
	v_mul_f64_e32 v[155:156], s[16:17], v[151:152]
	v_mul_f64_e32 v[181:182], s[42:43], v[151:152]
	s_delay_alu instid0(VALU_DEP_2) | instskip(SKIP_1) | instid1(VALU_DEP_2)
	v_fma_f64 v[157:158], v[153:154], s[34:35], v[155:156]
	v_fma_f64 v[89:90], v[153:154], s[26:27], v[155:156]
	v_add_f64_e32 v[85:86], v[157:158], v[85:86]
	v_add_f64_e64 v[157:158], v[39:40], -v[11:12]
	s_delay_alu instid0(VALU_DEP_3) | instskip(NEXT) | instid1(VALU_DEP_2)
	v_add_f64_e32 v[89:90], v[89:90], v[87:88]
	v_mul_f64_e32 v[161:162], s[26:27], v[157:158]
	v_mul_f64_e32 v[183:184], s[46:47], v[157:158]
	s_delay_alu instid0(VALU_DEP_2) | instskip(SKIP_2) | instid1(VALU_DEP_3)
	v_fma_f64 v[93:94], v[159:160], s[16:17], -v[161:162]
	v_fma_f64 v[163:164], v[159:160], s[16:17], v[161:162]
	v_mul_f64_e32 v[161:162], s[14:15], v[151:152]
	v_add_f64_e32 v[87:88], v[93:94], v[91:92]
	v_fma_f64 v[91:92], v[1:2], s[34:35], v[95:96]
	v_fma_f64 v[93:94], v[68:69], s[16:17], v[97:98]
	;; [unrolled: 1-line block ×3, first 2 shown]
	v_fma_f64 v[97:98], v[68:69], s[16:17], -v[97:98]
	v_add_f64_e32 v[83:84], v[163:164], v[83:84]
	v_mul_f64_e32 v[163:164], s[38:39], v[157:158]
	v_add_f64_e32 v[91:92], v[91:92], v[113:114]
	v_add_f64_e32 v[93:94], v[93:94], v[101:102]
	v_fma_f64 v[101:102], v[70:71], s[28:29], v[99:100]
	v_add_f64_e32 v[95:96], v[95:96], v[115:116]
	v_fma_f64 v[99:100], v[70:71], s[40:41], v[99:100]
	v_add_f64_e32 v[97:98], v[97:98], v[117:118]
	v_mul_f64_e32 v[115:116], s[22:23], v[111:112]
	v_mul_f64_e32 v[117:118], s[42:43], v[123:124]
	v_add_f64_e32 v[91:92], v[101:102], v[91:92]
	v_mul_f64_e32 v[101:102], s[40:41], v[125:126]
	v_add_f64_e32 v[95:96], v[99:100], v[95:96]
	s_delay_alu instid0(VALU_DEP_2) | instskip(SKIP_2) | instid1(VALU_DEP_3)
	v_fma_f64 v[113:114], v[127:128], s[24:25], v[101:102]
	v_fma_f64 v[99:100], v[127:128], s[24:25], -v[101:102]
	v_fma_f64 v[101:102], v[159:160], s[14:15], -v[163:164]
	v_add_f64_e32 v[93:94], v[113:114], v[93:94]
	v_mul_f64_e32 v[113:114], s[10:11], v[129:130]
	s_delay_alu instid0(VALU_DEP_4) | instskip(NEXT) | instid1(VALU_DEP_2)
	v_add_f64_e32 v[97:98], v[99:100], v[97:98]
	v_fma_f64 v[137:138], v[131:132], s[30:31], v[113:114]
	v_fma_f64 v[99:100], v[131:132], s[20:21], v[113:114]
	v_mul_f64_e32 v[113:114], s[12:13], v[59:60]
	s_delay_alu instid0(VALU_DEP_3) | instskip(SKIP_1) | instid1(VALU_DEP_4)
	v_add_f64_e32 v[91:92], v[137:138], v[91:92]
	v_mul_f64_e32 v[137:138], s[20:21], v[133:134]
	v_add_f64_e32 v[95:96], v[99:100], v[95:96]
	s_delay_alu instid0(VALU_DEP_2) | instskip(SKIP_2) | instid1(VALU_DEP_3)
	v_fma_f64 v[143:144], v[135:136], s[10:11], v[137:138]
	v_fma_f64 v[99:100], v[135:136], s[10:11], -v[137:138]
	v_mul_f64_e32 v[137:138], s[16:17], v[129:130]
	v_add_f64_e32 v[93:94], v[143:144], v[93:94]
	v_mul_f64_e32 v[143:144], s[42:43], v[139:140]
	s_delay_alu instid0(VALU_DEP_4) | instskip(NEXT) | instid1(VALU_DEP_2)
	v_add_f64_e32 v[97:98], v[99:100], v[97:98]
	v_fma_f64 v[149:150], v[141:142], s[44:45], v[143:144]
	v_fma_f64 v[99:100], v[141:142], s[46:47], v[143:144]
	v_mul_f64_e32 v[143:144], s[34:35], v[133:134]
	s_delay_alu instid0(VALU_DEP_3) | instskip(SKIP_1) | instid1(VALU_DEP_4)
	v_add_f64_e32 v[91:92], v[149:150], v[91:92]
	v_mul_f64_e32 v[149:150], s[46:47], v[145:146]
	v_add_f64_e32 v[95:96], v[99:100], v[95:96]
	s_delay_alu instid0(VALU_DEP_2) | instskip(SKIP_2) | instid1(VALU_DEP_3)
	v_fma_f64 v[99:100], v[147:148], s[42:43], -v[149:150]
	v_fma_f64 v[155:156], v[147:148], s[42:43], v[149:150]
	v_mul_f64_e32 v[149:150], s[10:11], v[139:140]
	v_add_f64_e32 v[99:100], v[99:100], v[97:98]
	v_fma_f64 v[97:98], v[153:154], s[38:39], v[161:162]
	s_delay_alu instid0(VALU_DEP_4) | instskip(SKIP_2) | instid1(VALU_DEP_4)
	v_add_f64_e32 v[155:156], v[155:156], v[93:94]
	v_fma_f64 v[93:94], v[153:154], s[18:19], v[161:162]
	v_mul_f64_e32 v[161:162], s[24:25], v[151:152]
	v_add_f64_e32 v[97:98], v[97:98], v[95:96]
	v_add_f64_e32 v[95:96], v[101:102], v[99:100]
	v_fma_f64 v[99:100], v[1:2], s[36:37], v[113:114]
	v_fma_f64 v[101:102], v[68:69], s[12:13], v[115:116]
	v_add_f64_e32 v[93:94], v[93:94], v[91:92]
	v_fma_f64 v[91:92], v[159:160], s[14:15], v[163:164]
	v_mul_f64_e32 v[163:164], s[28:29], v[157:158]
	v_fma_f64 v[113:114], v[1:2], s[22:23], v[113:114]
	v_add_f64_e32 v[99:100], v[99:100], v[119:120]
	v_add_f64_e32 v[101:102], v[101:102], v[103:104]
	v_fma_f64 v[103:104], v[70:71], s[44:45], v[117:118]
	v_mul_f64_e32 v[119:120], s[46:47], v[125:126]
	v_add_f64_e32 v[91:92], v[91:92], v[155:156]
	v_mul_f64_e32 v[155:156], s[20:21], v[145:146]
	v_add_f64_e32 v[78:79], v[113:114], v[78:79]
	v_fma_f64 v[113:114], v[68:69], s[12:13], -v[115:116]
	v_fma_f64 v[115:116], v[159:160], s[24:25], -v[163:164]
	v_add_f64_e32 v[99:100], v[103:104], v[99:100]
	v_fma_f64 v[103:104], v[127:128], s[42:43], v[119:120]
	s_delay_alu instid0(VALU_DEP_4) | instskip(SKIP_2) | instid1(VALU_DEP_4)
	v_add_f64_e32 v[76:77], v[113:114], v[76:77]
	v_fma_f64 v[113:114], v[70:71], s[46:47], v[117:118]
	v_mul_f64_e32 v[117:118], s[34:35], v[125:126]
	v_add_f64_e32 v[101:102], v[103:104], v[101:102]
	v_fma_f64 v[103:104], v[131:132], s[26:27], v[137:138]
	s_delay_alu instid0(VALU_DEP_4) | instskip(SKIP_2) | instid1(VALU_DEP_4)
	v_add_f64_e32 v[78:79], v[113:114], v[78:79]
	v_fma_f64 v[113:114], v[127:128], s[42:43], -v[119:120]
	v_mul_f64_e32 v[119:120], s[14:15], v[129:130]
	v_add_f64_e32 v[99:100], v[103:104], v[99:100]
	v_fma_f64 v[103:104], v[135:136], s[16:17], v[143:144]
	s_delay_alu instid0(VALU_DEP_4) | instskip(SKIP_1) | instid1(VALU_DEP_3)
	v_add_f64_e32 v[76:77], v[113:114], v[76:77]
	v_fma_f64 v[113:114], v[131:132], s[34:35], v[137:138]
	v_add_f64_e32 v[101:102], v[103:104], v[101:102]
	v_fma_f64 v[103:104], v[141:142], s[30:31], v[149:150]
	s_delay_alu instid0(VALU_DEP_3) | instskip(SKIP_1) | instid1(VALU_DEP_3)
	v_add_f64_e32 v[78:79], v[113:114], v[78:79]
	v_fma_f64 v[113:114], v[135:136], s[16:17], -v[143:144]
	v_add_f64_e32 v[99:100], v[103:104], v[99:100]
	v_fma_f64 v[103:104], v[147:148], s[10:11], v[155:156]
	s_delay_alu instid0(VALU_DEP_3) | instskip(SKIP_1) | instid1(VALU_DEP_3)
	v_add_f64_e32 v[76:77], v[113:114], v[76:77]
	v_fma_f64 v[113:114], v[141:142], s[20:21], v[149:150]
	v_add_f64_e32 v[103:104], v[103:104], v[101:102]
	v_fma_f64 v[101:102], v[153:154], s[40:41], v[161:162]
	s_delay_alu instid0(VALU_DEP_3) | instskip(SKIP_1) | instid1(VALU_DEP_3)
	v_add_f64_e32 v[78:79], v[113:114], v[78:79]
	v_fma_f64 v[113:114], v[147:148], s[10:11], -v[155:156]
	v_add_f64_e32 v[101:102], v[101:102], v[99:100]
	v_fma_f64 v[99:100], v[159:160], s[24:25], v[163:164]
	s_delay_alu instid0(VALU_DEP_3) | instskip(SKIP_1) | instid1(VALU_DEP_3)
	v_add_f64_e32 v[76:77], v[113:114], v[76:77]
	v_fma_f64 v[113:114], v[153:154], s[28:29], v[161:162]
	v_add_f64_e32 v[99:100], v[99:100], v[103:104]
	v_fma_f64 v[103:104], v[1:2], s[38:39], v[165:166]
	s_delay_alu instid0(VALU_DEP_4) | instskip(NEXT) | instid1(VALU_DEP_4)
	v_add_f64_e32 v[76:77], v[115:116], v[76:77]
	v_add_f64_e32 v[78:79], v[113:114], v[78:79]
	v_fma_f64 v[113:114], v[1:2], s[20:21], v[185:186]
	s_delay_alu instid0(VALU_DEP_4) | instskip(SKIP_1) | instid1(VALU_DEP_3)
	v_add_f64_e32 v[103:104], v[103:104], v[105:106]
	v_fma_f64 v[105:106], v[68:69], s[14:15], -v[167:168]
	v_add_f64_e32 v[74:75], v[113:114], v[74:75]
	s_delay_alu instid0(VALU_DEP_2) | instskip(SKIP_1) | instid1(VALU_DEP_1)
	v_add_f64_e32 v[105:106], v[105:106], v[109:110]
	v_fma_f64 v[109:110], v[70:71], s[30:31], v[169:170]
	v_add_f64_e32 v[103:104], v[109:110], v[103:104]
	v_fma_f64 v[109:110], v[127:128], s[10:11], -v[171:172]
	s_delay_alu instid0(VALU_DEP_1) | instskip(SKIP_1) | instid1(VALU_DEP_1)
	v_add_f64_e32 v[105:106], v[109:110], v[105:106]
	v_fma_f64 v[109:110], v[131:132], s[22:23], v[173:174]
	v_add_f64_e32 v[103:104], v[109:110], v[103:104]
	v_fma_f64 v[109:110], v[135:136], s[12:13], -v[175:176]
	s_delay_alu instid0(VALU_DEP_1) | instskip(SKIP_1) | instid1(VALU_DEP_1)
	;; [unrolled: 5-line block ×4, first 2 shown]
	v_add_f64_e32 v[103:104], v[103:104], v[109:110]
	v_fma_f64 v[109:110], v[1:2], s[30:31], v[185:186]
	v_add_f64_e32 v[109:110], v[109:110], v[121:122]
	v_mul_f64_e32 v[121:122], s[30:31], v[111:112]
	v_mul_f64_e32 v[111:112], s[40:41], v[111:112]
	s_delay_alu instid0(VALU_DEP_2) | instskip(SKIP_2) | instid1(VALU_DEP_3)
	v_fma_f64 v[187:188], v[68:69], s[10:11], -v[121:122]
	v_fma_f64 v[113:114], v[68:69], s[10:11], v[121:122]
	v_mul_f64_e32 v[121:122], s[38:39], v[133:134]
	v_add_f64_e32 v[107:108], v[187:188], v[107:108]
	v_mul_f64_e32 v[187:188], s[14:15], v[123:124]
	s_delay_alu instid0(VALU_DEP_4) | instskip(NEXT) | instid1(VALU_DEP_2)
	v_add_f64_e32 v[72:73], v[113:114], v[72:73]
	v_fma_f64 v[189:190], v[70:71], s[18:19], v[187:188]
	v_fma_f64 v[113:114], v[70:71], s[38:39], v[187:188]
	s_delay_alu instid0(VALU_DEP_2) | instskip(SKIP_1) | instid1(VALU_DEP_3)
	v_add_f64_e32 v[109:110], v[189:190], v[109:110]
	v_mul_f64_e32 v[189:190], s[18:19], v[125:126]
	v_add_f64_e32 v[74:75], v[113:114], v[74:75]
	v_mul_f64_e32 v[125:126], s[36:37], v[145:146]
	s_delay_alu instid0(VALU_DEP_3) | instskip(SKIP_1) | instid1(VALU_DEP_2)
	v_fma_f64 v[191:192], v[127:128], s[14:15], -v[189:190]
	v_fma_f64 v[113:114], v[127:128], s[14:15], v[189:190]
	v_add_f64_e32 v[107:108], v[191:192], v[107:108]
	v_mul_f64_e32 v[191:192], s[42:43], v[129:130]
	s_delay_alu instid0(VALU_DEP_3) | instskip(SKIP_1) | instid1(VALU_DEP_3)
	v_add_f64_e32 v[72:73], v[113:114], v[72:73]
	v_mul_f64_e32 v[129:130], s[10:11], v[151:152]
	v_fma_f64 v[193:194], v[131:132], s[46:47], v[191:192]
	v_fma_f64 v[113:114], v[131:132], s[44:45], v[191:192]
	s_delay_alu instid0(VALU_DEP_2) | instskip(SKIP_1) | instid1(VALU_DEP_3)
	v_add_f64_e32 v[109:110], v[193:194], v[109:110]
	v_mul_f64_e32 v[193:194], s[46:47], v[133:134]
	v_add_f64_e32 v[74:75], v[113:114], v[74:75]
	v_mul_f64_e32 v[133:134], s[30:31], v[157:158]
	s_delay_alu instid0(VALU_DEP_3) | instskip(SKIP_1) | instid1(VALU_DEP_2)
	v_fma_f64 v[195:196], v[135:136], s[42:43], -v[193:194]
	v_fma_f64 v[113:114], v[135:136], s[42:43], v[193:194]
	v_add_f64_e32 v[107:108], v[195:196], v[107:108]
	v_mul_f64_e32 v[195:196], s[24:25], v[139:140]
	s_delay_alu instid0(VALU_DEP_3) | instskip(NEXT) | instid1(VALU_DEP_2)
	v_add_f64_e32 v[72:73], v[113:114], v[72:73]
	v_fma_f64 v[197:198], v[141:142], s[40:41], v[195:196]
	v_fma_f64 v[113:114], v[141:142], s[28:29], v[195:196]
	s_delay_alu instid0(VALU_DEP_2) | instskip(SKIP_1) | instid1(VALU_DEP_3)
	v_add_f64_e32 v[109:110], v[197:198], v[109:110]
	v_mul_f64_e32 v[197:198], s[40:41], v[145:146]
	v_add_f64_e32 v[74:75], v[113:114], v[74:75]
	s_delay_alu instid0(VALU_DEP_2) | instskip(SKIP_1) | instid1(VALU_DEP_2)
	v_fma_f64 v[199:200], v[147:148], s[24:25], -v[197:198]
	v_fma_f64 v[113:114], v[147:148], s[24:25], v[197:198]
	v_add_f64_e32 v[107:108], v[199:200], v[107:108]
	v_mul_f64_e32 v[199:200], s[12:13], v[151:152]
	s_delay_alu instid0(VALU_DEP_3) | instskip(NEXT) | instid1(VALU_DEP_2)
	v_add_f64_e32 v[72:73], v[113:114], v[72:73]
	v_fma_f64 v[113:114], v[153:154], s[22:23], v[199:200]
	v_fma_f64 v[201:202], v[153:154], s[36:37], v[199:200]
	s_delay_alu instid0(VALU_DEP_2) | instskip(SKIP_1) | instid1(VALU_DEP_3)
	v_add_f64_e32 v[74:75], v[113:114], v[74:75]
	v_fma_f64 v[113:114], v[1:2], s[18:19], v[165:166]
	v_add_f64_e32 v[109:110], v[201:202], v[109:110]
	v_mul_f64_e32 v[201:202], s[36:37], v[157:158]
	s_delay_alu instid0(VALU_DEP_3) | instskip(SKIP_1) | instid1(VALU_DEP_3)
	v_add_f64_e32 v[66:67], v[113:114], v[66:67]
	v_fma_f64 v[113:114], v[68:69], s[14:15], v[167:168]
	v_fma_f64 v[115:116], v[159:160], s[12:13], v[201:202]
	v_fma_f64 v[203:204], v[159:160], s[12:13], -v[201:202]
	s_delay_alu instid0(VALU_DEP_3) | instskip(SKIP_1) | instid1(VALU_DEP_4)
	v_add_f64_e32 v[64:65], v[113:114], v[64:65]
	v_fma_f64 v[113:114], v[70:71], s[20:21], v[169:170]
	v_add_f64_e32 v[72:73], v[115:116], v[72:73]
	v_fma_f64 v[115:116], v[159:160], s[42:43], v[183:184]
	v_add_f64_e32 v[107:108], v[203:204], v[107:108]
	s_delay_alu instid0(VALU_DEP_4) | instskip(SKIP_1) | instid1(VALU_DEP_1)
	v_add_f64_e32 v[66:67], v[113:114], v[66:67]
	v_fma_f64 v[113:114], v[127:128], s[10:11], v[171:172]
	v_add_f64_e32 v[64:65], v[113:114], v[64:65]
	v_fma_f64 v[113:114], v[131:132], s[36:37], v[173:174]
	s_delay_alu instid0(VALU_DEP_1) | instskip(SKIP_1) | instid1(VALU_DEP_1)
	v_add_f64_e32 v[66:67], v[113:114], v[66:67]
	v_fma_f64 v[113:114], v[135:136], s[12:13], v[175:176]
	v_add_f64_e32 v[64:65], v[113:114], v[64:65]
	v_fma_f64 v[113:114], v[141:142], s[34:35], v[177:178]
	s_delay_alu instid0(VALU_DEP_1) | instskip(SKIP_1) | instid1(VALU_DEP_1)
	v_add_f64_e32 v[66:67], v[113:114], v[66:67]
	v_fma_f64 v[113:114], v[147:148], s[16:17], v[179:180]
	v_add_f64_e32 v[64:65], v[113:114], v[64:65]
	v_fma_f64 v[113:114], v[153:154], s[44:45], v[181:182]
	s_delay_alu instid0(VALU_DEP_2) | instskip(NEXT) | instid1(VALU_DEP_2)
	v_add_f64_e32 v[64:65], v[115:116], v[64:65]
	v_add_f64_e32 v[66:67], v[113:114], v[66:67]
	v_mul_f64_e32 v[113:114], s[24:25], v[59:60]
	v_mul_f64_e32 v[115:116], s[16:17], v[123:124]
	;; [unrolled: 1-line block ×3, first 2 shown]
	s_delay_alu instid0(VALU_DEP_3) | instskip(SKIP_1) | instid1(VALU_DEP_2)
	v_fma_f64 v[59:60], v[1:2], s[40:41], v[113:114]
	v_fma_f64 v[1:2], v[1:2], s[28:29], v[113:114]
	v_add_f64_e32 v[57:58], v[59:60], v[57:58]
	v_fma_f64 v[59:60], v[68:69], s[24:25], -v[111:112]
	s_delay_alu instid0(VALU_DEP_3) | instskip(NEXT) | instid1(VALU_DEP_2)
	v_add_f64_e32 v[1:2], v[1:2], v[53:54]
	v_add_f64_e32 v[3:4], v[59:60], v[3:4]
	v_fma_f64 v[59:60], v[70:71], s[34:35], v[115:116]
	s_delay_alu instid0(VALU_DEP_1) | instskip(SKIP_1) | instid1(VALU_DEP_1)
	v_add_f64_e32 v[57:58], v[59:60], v[57:58]
	v_fma_f64 v[59:60], v[127:128], s[16:17], -v[117:118]
	v_add_f64_e32 v[3:4], v[59:60], v[3:4]
	v_fma_f64 v[59:60], v[131:132], s[38:39], v[119:120]
	s_delay_alu instid0(VALU_DEP_1) | instskip(SKIP_1) | instid1(VALU_DEP_1)
	v_add_f64_e32 v[57:58], v[59:60], v[57:58]
	v_fma_f64 v[59:60], v[135:136], s[14:15], -v[121:122]
	;; [unrolled: 5-line block ×4, first 2 shown]
	v_add_f64_e32 v[57:58], v[57:58], v[3:4]
	v_add_f64_e32 v[3:4], v[17:18], v[15:16]
	;; [unrolled: 1-line block ×3, first 2 shown]
	s_delay_alu instid0(VALU_DEP_2) | instskip(NEXT) | instid1(VALU_DEP_2)
	v_add_f64_e32 v[3:4], v[3:4], v[35:36]
	v_add_f64_e32 v[15:16], v[15:16], v[51:52]
	s_delay_alu instid0(VALU_DEP_2) | instskip(NEXT) | instid1(VALU_DEP_2)
	v_add_f64_e32 v[3:4], v[3:4], v[45:46]
	v_add_f64_e32 v[15:16], v[15:16], v[47:48]
	;; [unrolled: 3-line block ×4, first 2 shown]
	v_fma_f64 v[15:16], v[135:136], s[14:15], v[121:122]
	s_delay_alu instid0(VALU_DEP_3) | instskip(NEXT) | instid1(VALU_DEP_3)
	v_add_f64_e32 v[3:4], v[3:4], v[11:12]
	v_add_f64_e32 v[9:10], v[9:10], v[13:14]
	v_fma_f64 v[11:12], v[127:128], s[16:17], v[117:118]
	v_fma_f64 v[13:14], v[131:132], s[18:19], v[119:120]
	s_delay_alu instid0(VALU_DEP_4) | instskip(NEXT) | instid1(VALU_DEP_4)
	v_add_f64_e32 v[3:4], v[3:4], v[41:42]
	v_add_f64_e32 v[9:10], v[9:10], v[37:38]
	s_delay_alu instid0(VALU_DEP_2) | instskip(NEXT) | instid1(VALU_DEP_2)
	v_add_f64_e32 v[3:4], v[3:4], v[29:30]
	v_add_f64_e32 v[9:10], v[9:10], v[31:32]
	s_delay_alu instid0(VALU_DEP_2) | instskip(NEXT) | instid1(VALU_DEP_2)
	;; [unrolled: 3-line block ×3, first 2 shown]
	v_add_f64_e32 v[3:4], v[3:4], v[5:6]
	v_add_f64_e32 v[7:8], v[9:10], v[7:8]
	v_fma_f64 v[9:10], v[70:71], s[26:27], v[115:116]
	s_delay_alu instid0(VALU_DEP_3) | instskip(NEXT) | instid1(VALU_DEP_3)
	v_add_f64_e32 v[5:6], v[3:4], v[25:26]
	v_add_f64_e32 v[3:4], v[7:8], v[27:28]
	v_fma_f64 v[7:8], v[68:69], s[24:25], v[111:112]
	s_delay_alu instid0(VALU_DEP_4) | instskip(SKIP_1) | instid1(VALU_DEP_3)
	v_add_f64_e32 v[1:2], v[9:10], v[1:2]
	v_fma_f64 v[9:10], v[141:142], s[22:23], v[123:124]
	v_add_f64_e32 v[7:8], v[7:8], v[55:56]
	s_delay_alu instid0(VALU_DEP_3) | instskip(SKIP_1) | instid1(VALU_DEP_3)
	v_add_f64_e32 v[1:2], v[13:14], v[1:2]
	v_fma_f64 v[13:14], v[153:154], s[20:21], v[129:130]
	v_add_f64_e32 v[7:8], v[11:12], v[7:8]
	v_fma_f64 v[11:12], v[147:148], s[12:13], v[125:126]
	s_delay_alu instid0(VALU_DEP_4) | instskip(NEXT) | instid1(VALU_DEP_3)
	v_add_f64_e32 v[1:2], v[9:10], v[1:2]
	v_add_f64_e32 v[7:8], v[15:16], v[7:8]
	v_fma_f64 v[15:16], v[159:160], s[10:11], v[133:134]
	s_delay_alu instid0(VALU_DEP_3) | instskip(SKIP_1) | instid1(VALU_DEP_1)
	v_add_f64_e32 v[9:10], v[13:14], v[1:2]
	v_lshrrev_b32_e32 v1, 5, v0
	v_mul_u32_u24_e32 v1, 52, v1
	s_delay_alu instid0(VALU_DEP_1) | instskip(NEXT) | instid1(VALU_DEP_1)
	v_or_b32_e32 v1, v1, v82
	v_lshlrev_b32_e32 v1, 7, v1
	s_delay_alu instid0(VALU_DEP_1) | instskip(SKIP_1) | instid1(VALU_DEP_1)
	v_add3_u32 v1, 0, v1, v81
	v_add_f64_e32 v[7:8], v[11:12], v[7:8]
	v_add_f64_e32 v[7:8], v[15:16], v[7:8]
	ds_store_b128 v1, v[103:106] offset:1024
	ds_store_b128 v1, v[107:110] offset:1536
	;; [unrolled: 1-line block ×11, first 2 shown]
	ds_store_b128 v1, v[3:6]
	ds_store_b128 v1, v[7:10] offset:6144
.LBB0_14:
	s_wait_alu 0xfffe
	s_or_b32 exec_lo, exec_lo, s7
	global_wb scope:SCOPE_SE
	s_wait_dscnt 0x0
	s_barrier_signal -1
	s_barrier_wait -1
	global_inv scope:SCOPE_SE
	s_and_saveexec_b32 s7, s5
	s_cbranch_execz .LBB0_16
; %bb.15:
	v_and_b32_e32 v1, 0xff, v62
	v_and_b32_e32 v2, 0xff, v80
	s_load_b64 s[0:1], s[0:1], 0x8
	v_lshlrev_b32_e32 v57, 7, v80
	v_and_b32_e32 v0, 0xffff, v0
	v_mul_lo_u16 v1, 0x4f, v1
	v_mul_lo_u16 v2, 0x4f, v2
	s_delay_alu instid0(VALU_DEP_3) | instskip(NEXT) | instid1(VALU_DEP_3)
	v_mul_u32_u24_e32 v0, 0x4ec5, v0
	v_lshrrev_b16 v1, 12, v1
	s_delay_alu instid0(VALU_DEP_3) | instskip(NEXT) | instid1(VALU_DEP_3)
	v_lshrrev_b16 v2, 12, v2
	v_lshrrev_b32_e32 v0, 23, v0
	s_delay_alu instid0(VALU_DEP_3) | instskip(NEXT) | instid1(VALU_DEP_3)
	v_mul_lo_u16 v1, v1, 52
	v_mul_lo_u16 v2, v2, 52
	s_delay_alu instid0(VALU_DEP_3) | instskip(NEXT) | instid1(VALU_DEP_3)
	v_mul_lo_u16 v0, 0x68, v0
	v_sub_nc_u16 v1, v62, v1
	s_delay_alu instid0(VALU_DEP_3) | instskip(SKIP_1) | instid1(VALU_DEP_4)
	v_sub_nc_u16 v2, v80, v2
	v_add3_u32 v80, 0, v57, v81
	v_and_b32_e32 v0, 0xffff, v0
	s_delay_alu instid0(VALU_DEP_4) | instskip(NEXT) | instid1(VALU_DEP_4)
	v_and_b32_e32 v79, 0xff, v1
	v_and_b32_e32 v82, 0xff, v2
	s_delay_alu instid0(VALU_DEP_2) | instskip(SKIP_1) | instid1(VALU_DEP_3)
	v_add_nc_u32_e32 v2, 52, v79
	v_mul_lo_u32 v41, v63, v79
	v_add_nc_u32_e32 v9, 52, v82
	v_mul_lo_u32 v42, v63, v82
	v_lshlrev_b32_e32 v1, 4, v79
	v_mul_lo_u32 v43, v63, v2
	v_lshlrev_b32_e32 v5, 4, v82
	v_mul_lo_u32 v44, v63, v9
	s_clause 0x1
	global_load_b128 v[1:4], v1, s[8:9] offset:768
	global_load_b128 v[5:8], v5, s[8:9] offset:768
	v_and_b32_e32 v9, 0xff, v41
	v_lshrrev_b32_e32 v10, 4, v41
	v_and_b32_e32 v11, 0xff, v42
	v_lshrrev_b32_e32 v12, 4, v42
	;; [unrolled: 2-line block ×3, first 2 shown]
	v_lshlrev_b32_e32 v9, 4, v9
	v_and_b32_e32 v15, 0xff0, v10
	v_and_b32_e32 v17, 0xff, v44
	v_lshrrev_b32_e32 v18, 4, v44
	v_lshlrev_b32_e32 v19, 4, v11
	v_and_b32_e32 v21, 0xff0, v12
	v_lshlrev_b32_e32 v25, 4, v13
	v_and_b32_e32 v33, 0xff0, v14
	s_wait_kmcnt 0x0
	s_clause 0x1
	global_load_b128 v[9:12], v9, s[0:1]
	global_load_b128 v[13:16], v15, s[0:1] offset:4096
	v_lshlrev_b32_e32 v29, 4, v17
	v_and_b32_e32 v37, 0xff0, v18
	s_clause 0x5
	global_load_b128 v[17:20], v19, s[0:1]
	global_load_b128 v[21:24], v21, s[0:1] offset:4096
	global_load_b128 v[25:28], v25, s[0:1]
	global_load_b128 v[29:32], v29, s[0:1]
	global_load_b128 v[33:36], v33, s[0:1] offset:4096
	global_load_b128 v[37:40], v37, s[0:1] offset:4096
	v_lshrrev_b32_e32 v41, 12, v41
	v_lshrrev_b32_e32 v42, 12, v42
	;; [unrolled: 1-line block ×4, first 2 shown]
	s_delay_alu instid0(VALU_DEP_4) | instskip(NEXT) | instid1(VALU_DEP_4)
	v_and_b32_e32 v41, 0xff0, v41
	v_and_b32_e32 v46, 0xff0, v42
	s_delay_alu instid0(VALU_DEP_4) | instskip(NEXT) | instid1(VALU_DEP_4)
	v_and_b32_e32 v49, 0xff0, v43
	v_and_b32_e32 v53, 0xff0, v45
	s_clause 0x3
	global_load_b128 v[41:44], v41, s[0:1] offset:8192
	global_load_b128 v[45:48], v46, s[0:1] offset:8192
	global_load_b128 v[49:52], v49, s[0:1] offset:8192
	global_load_b128 v[53:56], v53, s[0:1] offset:8192
	ds_load_b128 v[57:60], v80 offset:9984
	ds_load_b128 v[63:66], v80 offset:6656
	s_wait_loadcnt_dscnt 0xd01
	v_mul_f64_e32 v[67:68], v[57:58], v[3:4]
	v_mul_f64_e32 v[3:4], v[59:60], v[3:4]
	s_wait_loadcnt_dscnt 0xc00
	v_mul_f64_e32 v[71:72], v[65:66], v[7:8]
	v_mul_f64_e32 v[7:8], v[63:64], v[7:8]
	s_wait_loadcnt 0x8
	v_mul_f64_e32 v[73:74], v[19:20], v[23:24]
	v_mul_f64_e32 v[69:70], v[11:12], v[15:16]
	;; [unrolled: 1-line block ×3, first 2 shown]
	s_wait_loadcnt 0x5
	v_mul_f64_e32 v[75:76], v[27:28], v[35:36]
	s_wait_loadcnt 0x4
	v_mul_f64_e32 v[77:78], v[31:32], v[39:40]
	v_mul_f64_e32 v[23:24], v[17:18], v[23:24]
	;; [unrolled: 1-line block ×4, first 2 shown]
	v_fma_f64 v[59:60], v[59:60], v[1:2], v[67:68]
	v_fma_f64 v[57:58], v[57:58], v[1:2], -v[3:4]
	v_fma_f64 v[63:64], v[63:64], v[5:6], -v[71:72]
	v_fma_f64 v[65:66], v[65:66], v[5:6], v[7:8]
	v_lshlrev_b32_e32 v1, 7, v62
	s_delay_alu instid0(VALU_DEP_1)
	v_add3_u32 v1, 0, v1, v81
	ds_load_b128 v[1:4], v1
	ds_load_b128 v[5:8], v80
	v_fma_f64 v[17:18], v[17:18], v[21:22], -v[73:74]
	v_fma_f64 v[9:10], v[9:10], v[13:14], -v[69:70]
	v_fma_f64 v[11:12], v[11:12], v[13:14], v[15:16]
	v_fma_f64 v[25:26], v[25:26], v[33:34], -v[75:76]
	v_fma_f64 v[29:30], v[29:30], v[37:38], -v[77:78]
	v_fma_f64 v[13:14], v[21:22], v[19:20], v[23:24]
	v_fma_f64 v[15:16], v[27:28], v[33:34], v[35:36]
	;; [unrolled: 1-line block ×3, first 2 shown]
	s_wait_dscnt 0x1
	v_add_f64_e64 v[21:22], v[3:4], -v[59:60]
	v_add_f64_e64 v[23:24], v[1:2], -v[57:58]
	s_wait_dscnt 0x0
	v_add_f64_e64 v[31:32], v[5:6], -v[63:64]
	v_add_f64_e64 v[35:36], v[7:8], -v[65:66]
	s_wait_loadcnt 0x2
	v_mul_f64_e32 v[33:34], v[47:48], v[17:18]
	v_mul_f64_e32 v[27:28], v[9:10], v[43:44]
	;; [unrolled: 1-line block ×3, first 2 shown]
	s_wait_loadcnt 0x1
	v_mul_f64_e32 v[37:38], v[25:26], v[51:52]
	s_wait_loadcnt 0x0
	v_mul_f64_e32 v[39:40], v[29:30], v[55:56]
	v_mul_f64_e32 v[47:48], v[47:48], v[13:14]
	;; [unrolled: 1-line block ×4, first 2 shown]
	v_fma_f64 v[3:4], v[3:4], 2.0, -v[21:22]
	v_fma_f64 v[57:58], v[1:2], 2.0, -v[23:24]
	;; [unrolled: 1-line block ×3, first 2 shown]
	v_fma_f64 v[1:2], v[41:42], v[11:12], v[27:28]
	v_fma_f64 v[11:12], v[5:6], 2.0, -v[31:32]
	v_fma_f64 v[5:6], v[45:46], v[13:14], v[33:34]
	v_fma_f64 v[13:14], v[49:50], v[15:16], v[37:38]
	;; [unrolled: 1-line block ×3, first 2 shown]
	v_fma_f64 v[9:10], v[41:42], v[9:10], -v[43:44]
	v_fma_f64 v[17:18], v[45:46], v[17:18], -v[47:48]
	v_fma_f64 v[19:20], v[49:50], v[25:26], -v[51:52]
	v_fma_f64 v[25:26], v[53:54], v[29:30], -v[55:56]
	v_add_nc_u32_e32 v45, v0, v82
	s_delay_alu instid0(VALU_DEP_1)
	v_add_nc_u32_e32 v47, 52, v45
	v_mul_f64_e32 v[27:28], v[57:58], v[1:2]
	v_mul_f64_e32 v[29:30], v[3:4], v[1:2]
	v_mul_f64_e32 v[33:34], v[11:12], v[5:6]
	v_mul_f64_e32 v[37:38], v[7:8], v[5:6]
	v_mul_f64_e32 v[39:40], v[23:24], v[13:14]
	v_mul_f64_e32 v[41:42], v[21:22], v[13:14]
	v_mul_f64_e32 v[13:14], v[31:32], v[15:16]
	v_mul_f64_e32 v[43:44], v[35:36], v[15:16]
	v_add_nc_u32_e32 v16, s6, v61
	v_fma_f64 v[2:3], v[3:4], v[9:10], v[27:28]
	v_fma_f64 v[0:1], v[57:58], v[9:10], -v[29:30]
	v_fma_f64 v[6:7], v[7:8], v[17:18], v[33:34]
	v_fma_f64 v[4:5], v[11:12], v[17:18], -v[37:38]
	v_mad_co_u64_u32 v[17:18], null, s4, v45, v[16:17]
	v_mov_b32_e32 v18, 0
	v_fma_f64 v[14:15], v[35:36], v[25:26], v[13:14]
	v_fma_f64 v[12:13], v[31:32], v[25:26], -v[43:44]
	v_fma_f64 v[10:11], v[21:22], v[19:20], v[39:40]
	v_fma_f64 v[8:9], v[23:24], v[19:20], -v[41:42]
	v_mad_co_u64_u32 v[19:20], null, s4, v47, v[16:17]
	v_mov_b32_e32 v20, v18
	v_sub_nc_u32_e32 v46, v62, v79
	s_delay_alu instid0(VALU_DEP_1) | instskip(NEXT) | instid1(VALU_DEP_1)
	v_add_nc_u32_e32 v23, v46, v62
	v_add_nc_u32_e32 v25, 52, v23
	v_mad_co_u64_u32 v[21:22], null, s4, v23, v[16:17]
	v_mov_b32_e32 v22, v18
	v_lshlrev_b64_e32 v[23:24], 4, v[17:18]
	s_delay_alu instid0(VALU_DEP_4)
	v_mad_co_u64_u32 v[16:17], null, s4, v25, v[16:17]
	v_mov_b32_e32 v17, v18
	v_lshlrev_b64_e32 v[18:19], 4, v[19:20]
	v_lshlrev_b64_e32 v[20:21], 4, v[21:22]
	v_add_co_u32 v22, vcc_lo, s2, v23
	s_wait_alu 0xfffd
	v_add_co_ci_u32_e32 v23, vcc_lo, s3, v24, vcc_lo
	v_lshlrev_b64_e32 v[16:17], 4, v[16:17]
	v_add_co_u32 v18, vcc_lo, s2, v18
	s_wait_alu 0xfffd
	v_add_co_ci_u32_e32 v19, vcc_lo, s3, v19, vcc_lo
	v_add_co_u32 v20, vcc_lo, s2, v20
	s_wait_alu 0xfffd
	v_add_co_ci_u32_e32 v21, vcc_lo, s3, v21, vcc_lo
	;; [unrolled: 3-line block ×3, first 2 shown]
	s_clause 0x3
	global_store_b128 v[22:23], v[4:7], off
	global_store_b128 v[18:19], v[12:15], off
	;; [unrolled: 1-line block ×4, first 2 shown]
.LBB0_16:
	s_nop 0
	s_sendmsg sendmsg(MSG_DEALLOC_VGPRS)
	s_endpgm
	.section	.rodata,"a",@progbits
	.p2align	6, 0x0
	.amdhsa_kernel fft_rtc_fwd_len104_factors_4_13_2_wgs_208_tpt_26_dim2_dp_ip_CI_sbcc_twdbase8_3step_dirReg_intrinsicReadWrite
		.amdhsa_group_segment_fixed_size 0
		.amdhsa_private_segment_fixed_size 0
		.amdhsa_kernarg_size 88
		.amdhsa_user_sgpr_count 2
		.amdhsa_user_sgpr_dispatch_ptr 0
		.amdhsa_user_sgpr_queue_ptr 0
		.amdhsa_user_sgpr_kernarg_segment_ptr 1
		.amdhsa_user_sgpr_dispatch_id 0
		.amdhsa_user_sgpr_private_segment_size 0
		.amdhsa_wavefront_size32 1
		.amdhsa_uses_dynamic_stack 0
		.amdhsa_enable_private_segment 0
		.amdhsa_system_sgpr_workgroup_id_x 1
		.amdhsa_system_sgpr_workgroup_id_y 0
		.amdhsa_system_sgpr_workgroup_id_z 0
		.amdhsa_system_sgpr_workgroup_info 0
		.amdhsa_system_vgpr_workitem_id 0
		.amdhsa_next_free_vgpr 205
		.amdhsa_next_free_sgpr 48
		.amdhsa_reserve_vcc 1
		.amdhsa_float_round_mode_32 0
		.amdhsa_float_round_mode_16_64 0
		.amdhsa_float_denorm_mode_32 3
		.amdhsa_float_denorm_mode_16_64 3
		.amdhsa_fp16_overflow 0
		.amdhsa_workgroup_processor_mode 1
		.amdhsa_memory_ordered 1
		.amdhsa_forward_progress 0
		.amdhsa_round_robin_scheduling 0
		.amdhsa_exception_fp_ieee_invalid_op 0
		.amdhsa_exception_fp_denorm_src 0
		.amdhsa_exception_fp_ieee_div_zero 0
		.amdhsa_exception_fp_ieee_overflow 0
		.amdhsa_exception_fp_ieee_underflow 0
		.amdhsa_exception_fp_ieee_inexact 0
		.amdhsa_exception_int_div_zero 0
	.end_amdhsa_kernel
	.text
.Lfunc_end0:
	.size	fft_rtc_fwd_len104_factors_4_13_2_wgs_208_tpt_26_dim2_dp_ip_CI_sbcc_twdbase8_3step_dirReg_intrinsicReadWrite, .Lfunc_end0-fft_rtc_fwd_len104_factors_4_13_2_wgs_208_tpt_26_dim2_dp_ip_CI_sbcc_twdbase8_3step_dirReg_intrinsicReadWrite
                                        ; -- End function
	.section	.AMDGPU.csdata,"",@progbits
; Kernel info:
; codeLenInByte = 6000
; NumSgprs: 50
; NumVgprs: 205
; ScratchSize: 0
; MemoryBound: 0
; FloatMode: 240
; IeeeMode: 1
; LDSByteSize: 0 bytes/workgroup (compile time only)
; SGPRBlocks: 6
; VGPRBlocks: 25
; NumSGPRsForWavesPerEU: 50
; NumVGPRsForWavesPerEU: 205
; Occupancy: 7
; WaveLimiterHint : 1
; COMPUTE_PGM_RSRC2:SCRATCH_EN: 0
; COMPUTE_PGM_RSRC2:USER_SGPR: 2
; COMPUTE_PGM_RSRC2:TRAP_HANDLER: 0
; COMPUTE_PGM_RSRC2:TGID_X_EN: 1
; COMPUTE_PGM_RSRC2:TGID_Y_EN: 0
; COMPUTE_PGM_RSRC2:TGID_Z_EN: 0
; COMPUTE_PGM_RSRC2:TIDIG_COMP_CNT: 0
	.text
	.p2alignl 7, 3214868480
	.fill 96, 4, 3214868480
	.type	__hip_cuid_1e3bfb8eea9cc2b,@object ; @__hip_cuid_1e3bfb8eea9cc2b
	.section	.bss,"aw",@nobits
	.globl	__hip_cuid_1e3bfb8eea9cc2b
__hip_cuid_1e3bfb8eea9cc2b:
	.byte	0                               ; 0x0
	.size	__hip_cuid_1e3bfb8eea9cc2b, 1

	.ident	"AMD clang version 19.0.0git (https://github.com/RadeonOpenCompute/llvm-project roc-6.4.0 25133 c7fe45cf4b819c5991fe208aaa96edf142730f1d)"
	.section	".note.GNU-stack","",@progbits
	.addrsig
	.addrsig_sym __hip_cuid_1e3bfb8eea9cc2b
	.amdgpu_metadata
---
amdhsa.kernels:
  - .args:
      - .actual_access:  read_only
        .address_space:  global
        .offset:         0
        .size:           8
        .value_kind:     global_buffer
      - .address_space:  global
        .offset:         8
        .size:           8
        .value_kind:     global_buffer
      - .actual_access:  read_only
        .address_space:  global
        .offset:         16
        .size:           8
        .value_kind:     global_buffer
      - .actual_access:  read_only
        .address_space:  global
        .offset:         24
        .size:           8
        .value_kind:     global_buffer
      - .offset:         32
        .size:           8
        .value_kind:     by_value
      - .actual_access:  read_only
        .address_space:  global
        .offset:         40
        .size:           8
        .value_kind:     global_buffer
      - .actual_access:  read_only
        .address_space:  global
        .offset:         48
        .size:           8
        .value_kind:     global_buffer
      - .offset:         56
        .size:           4
        .value_kind:     by_value
      - .actual_access:  read_only
        .address_space:  global
        .offset:         64
        .size:           8
        .value_kind:     global_buffer
      - .actual_access:  read_only
        .address_space:  global
        .offset:         72
        .size:           8
        .value_kind:     global_buffer
      - .address_space:  global
        .offset:         80
        .size:           8
        .value_kind:     global_buffer
    .group_segment_fixed_size: 0
    .kernarg_segment_align: 8
    .kernarg_segment_size: 88
    .language:       OpenCL C
    .language_version:
      - 2
      - 0
    .max_flat_workgroup_size: 208
    .name:           fft_rtc_fwd_len104_factors_4_13_2_wgs_208_tpt_26_dim2_dp_ip_CI_sbcc_twdbase8_3step_dirReg_intrinsicReadWrite
    .private_segment_fixed_size: 0
    .sgpr_count:     50
    .sgpr_spill_count: 0
    .symbol:         fft_rtc_fwd_len104_factors_4_13_2_wgs_208_tpt_26_dim2_dp_ip_CI_sbcc_twdbase8_3step_dirReg_intrinsicReadWrite.kd
    .uniform_work_group_size: 1
    .uses_dynamic_stack: false
    .vgpr_count:     205
    .vgpr_spill_count: 0
    .wavefront_size: 32
    .workgroup_processor_mode: 1
amdhsa.target:   amdgcn-amd-amdhsa--gfx1201
amdhsa.version:
  - 1
  - 2
...

	.end_amdgpu_metadata
